;; amdgpu-corpus repo=ggml-org/llama.cpp kind=compiled arch=gfx906 opt=O3
	.amdgcn_target "amdgcn-amd-amdhsa--gfx906"
	.amdhsa_code_object_version 6
	.section	.text._ZL18opt_step_adamw_f32PfPKfS_S_S1_l,"axG",@progbits,_ZL18opt_step_adamw_f32PfPKfS_S_S1_l,comdat
	.globl	_ZL18opt_step_adamw_f32PfPKfS_S_S1_l ; -- Begin function _ZL18opt_step_adamw_f32PfPKfS_S_S1_l
	.p2align	8
	.type	_ZL18opt_step_adamw_f32PfPKfS_S_S1_l,@function
_ZL18opt_step_adamw_f32PfPKfS_S_S1_l:   ; @_ZL18opt_step_adamw_f32PfPKfS_S_S1_l
; %bb.0:
	s_load_dword s2, s[4:5], 0x3c
	s_load_dwordx2 s[0:1], s[4:5], 0x28
	v_mov_b32_e32 v1, 0
	v_mov_b32_e32 v2, s6
	s_waitcnt lgkmcnt(0)
	s_and_b32 s2, s2, 0xffff
	v_mad_u64_u32 v[0:1], s[2:3], s2, v2, v[0:1]
	v_cmp_gt_i64_e32 vcc, s[0:1], v[0:1]
	s_and_saveexec_b64 s[0:1], vcc
	s_cbranch_execz .LBB0_2
; %bb.1:
	s_load_dwordx8 s[8:15], s[4:5], 0x0
	v_lshlrev_b64 v[0:1], 2, v[0:1]
	s_load_dwordx2 s[0:1], s[4:5], 0x20
	s_waitcnt lgkmcnt(0)
	v_mov_b32_e32 v3, s11
	v_add_co_u32_e32 v2, vcc, s10, v0
	v_addc_co_u32_e32 v3, vcc, v3, v1, vcc
	v_mov_b32_e32 v5, s13
	v_add_co_u32_e32 v4, vcc, s12, v0
	v_addc_co_u32_e32 v5, vcc, v5, v1, vcc
	;; [unrolled: 3-line block ×3, first 2 shown]
	global_load_dword v8, v[4:5], off
	global_load_dword v9, v[6:7], off
	;; [unrolled: 1-line block ×3, first 2 shown]
	v_mov_b32_e32 v2, s9
	v_add_co_u32_e32 v0, vcc, s8, v0
	v_addc_co_u32_e32 v1, vcc, v2, v1, vcc
	global_load_dword v2, v[0:1], off
	s_load_dwordx4 s[4:7], s[0:1], 0x0
	s_load_dwordx2 s[2:3], s[0:1], 0x10
	s_load_dword s9, s[0:1], 0x18
	s_mov_b32 s8, 0xf800000
	v_mov_b32_e32 v3, 0x260
	s_waitcnt lgkmcnt(0)
	v_sub_f32_e64 v12, 1.0, s6
	v_sub_f32_e64 v11, 1.0, s5
	s_waitcnt vmcnt(3)
	v_mul_f32_e32 v8, s5, v8
	s_waitcnt vmcnt(2)
	v_mul_f32_e32 v9, s6, v9
	;; [unrolled: 2-line block ×3, first 2 shown]
	v_fmac_f32_e32 v9, v12, v13
	v_mul_f32_e32 v12, s9, v9
	v_mul_f32_e32 v13, 0x4f800000, v12
	v_cmp_gt_f32_e32 vcc, s8, v12
	v_cndmask_b32_e32 v12, v12, v13, vcc
	v_sqrt_f32_e32 v13, v12
	v_fmac_f32_e32 v8, v11, v10
	v_mul_f32_e32 v10, s3, v8
	v_mul_f32_e32 v10, s4, v10
	v_add_u32_e32 v11, -1, v13
	v_add_u32_e32 v14, 1, v13
	v_fma_f32 v15, -v11, v13, v12
	v_fma_f32 v16, -v14, v13, v12
	v_cmp_ge_f32_e64 s[0:1], 0, v15
	v_cndmask_b32_e64 v11, v13, v11, s[0:1]
	v_cmp_lt_f32_e64 s[0:1], 0, v16
	v_cndmask_b32_e64 v11, v11, v14, s[0:1]
	v_mul_f32_e32 v13, 0x37800000, v11
	v_cndmask_b32_e32 v11, v11, v13, vcc
	v_cmp_class_f32_e32 vcc, v12, v3
	v_cndmask_b32_e32 v3, v11, v12, vcc
	v_add_f32_e32 v3, s7, v3
	v_div_scale_f32 v11, s[0:1], v3, v3, v10
	v_div_scale_f32 v12, vcc, v10, v3, v10
	global_store_dword v[4:5], v8, off
	global_store_dword v[6:7], v9, off
	v_mov_b32_e32 v4, s2
	v_fma_f32 v4, -s4, v4, 1.0
	v_rcp_f32_e32 v13, v11
	v_fma_f32 v14, -v11, v13, 1.0
	v_fmac_f32_e32 v13, v14, v13
	v_mul_f32_e32 v14, v12, v13
	v_fma_f32 v15, -v11, v14, v12
	v_fmac_f32_e32 v14, v15, v13
	v_fma_f32 v11, -v11, v14, v12
	v_div_fmas_f32 v11, v11, v13, v14
	v_div_fixup_f32 v3, v11, v3, v10
	s_waitcnt vmcnt(2)
	v_fma_f32 v2, v4, v2, -v3
	global_store_dword v[0:1], v2, off
.LBB0_2:
	s_endpgm
	.section	.rodata,"a",@progbits
	.p2align	6, 0x0
	.amdhsa_kernel _ZL18opt_step_adamw_f32PfPKfS_S_S1_l
		.amdhsa_group_segment_fixed_size 0
		.amdhsa_private_segment_fixed_size 0
		.amdhsa_kernarg_size 304
		.amdhsa_user_sgpr_count 6
		.amdhsa_user_sgpr_private_segment_buffer 1
		.amdhsa_user_sgpr_dispatch_ptr 0
		.amdhsa_user_sgpr_queue_ptr 0
		.amdhsa_user_sgpr_kernarg_segment_ptr 1
		.amdhsa_user_sgpr_dispatch_id 0
		.amdhsa_user_sgpr_flat_scratch_init 0
		.amdhsa_user_sgpr_private_segment_size 0
		.amdhsa_uses_dynamic_stack 0
		.amdhsa_system_sgpr_private_segment_wavefront_offset 0
		.amdhsa_system_sgpr_workgroup_id_x 1
		.amdhsa_system_sgpr_workgroup_id_y 0
		.amdhsa_system_sgpr_workgroup_id_z 0
		.amdhsa_system_sgpr_workgroup_info 0
		.amdhsa_system_vgpr_workitem_id 0
		.amdhsa_next_free_vgpr 17
		.amdhsa_next_free_sgpr 16
		.amdhsa_reserve_vcc 1
		.amdhsa_reserve_flat_scratch 0
		.amdhsa_float_round_mode_32 0
		.amdhsa_float_round_mode_16_64 0
		.amdhsa_float_denorm_mode_32 3
		.amdhsa_float_denorm_mode_16_64 3
		.amdhsa_dx10_clamp 1
		.amdhsa_ieee_mode 1
		.amdhsa_fp16_overflow 0
		.amdhsa_exception_fp_ieee_invalid_op 0
		.amdhsa_exception_fp_denorm_src 0
		.amdhsa_exception_fp_ieee_div_zero 0
		.amdhsa_exception_fp_ieee_overflow 0
		.amdhsa_exception_fp_ieee_underflow 0
		.amdhsa_exception_fp_ieee_inexact 0
		.amdhsa_exception_int_div_zero 0
	.end_amdhsa_kernel
	.section	.text._ZL18opt_step_adamw_f32PfPKfS_S_S1_l,"axG",@progbits,_ZL18opt_step_adamw_f32PfPKfS_S_S1_l,comdat
.Lfunc_end0:
	.size	_ZL18opt_step_adamw_f32PfPKfS_S_S1_l, .Lfunc_end0-_ZL18opt_step_adamw_f32PfPKfS_S_S1_l
                                        ; -- End function
	.set _ZL18opt_step_adamw_f32PfPKfS_S_S1_l.num_vgpr, 17
	.set _ZL18opt_step_adamw_f32PfPKfS_S_S1_l.num_agpr, 0
	.set _ZL18opt_step_adamw_f32PfPKfS_S_S1_l.numbered_sgpr, 16
	.set _ZL18opt_step_adamw_f32PfPKfS_S_S1_l.num_named_barrier, 0
	.set _ZL18opt_step_adamw_f32PfPKfS_S_S1_l.private_seg_size, 0
	.set _ZL18opt_step_adamw_f32PfPKfS_S_S1_l.uses_vcc, 1
	.set _ZL18opt_step_adamw_f32PfPKfS_S_S1_l.uses_flat_scratch, 0
	.set _ZL18opt_step_adamw_f32PfPKfS_S_S1_l.has_dyn_sized_stack, 0
	.set _ZL18opt_step_adamw_f32PfPKfS_S_S1_l.has_recursion, 0
	.set _ZL18opt_step_adamw_f32PfPKfS_S_S1_l.has_indirect_call, 0
	.section	.AMDGPU.csdata,"",@progbits
; Kernel info:
; codeLenInByte = 492
; TotalNumSgprs: 20
; NumVgprs: 17
; ScratchSize: 0
; MemoryBound: 0
; FloatMode: 240
; IeeeMode: 1
; LDSByteSize: 0 bytes/workgroup (compile time only)
; SGPRBlocks: 2
; VGPRBlocks: 4
; NumSGPRsForWavesPerEU: 20
; NumVGPRsForWavesPerEU: 17
; Occupancy: 10
; WaveLimiterHint : 0
; COMPUTE_PGM_RSRC2:SCRATCH_EN: 0
; COMPUTE_PGM_RSRC2:USER_SGPR: 6
; COMPUTE_PGM_RSRC2:TRAP_HANDLER: 0
; COMPUTE_PGM_RSRC2:TGID_X_EN: 1
; COMPUTE_PGM_RSRC2:TGID_Y_EN: 0
; COMPUTE_PGM_RSRC2:TGID_Z_EN: 0
; COMPUTE_PGM_RSRC2:TIDIG_COMP_CNT: 0
	.section	.AMDGPU.gpr_maximums,"",@progbits
	.set amdgpu.max_num_vgpr, 0
	.set amdgpu.max_num_agpr, 0
	.set amdgpu.max_num_sgpr, 0
	.section	.AMDGPU.csdata,"",@progbits
	.type	__hip_cuid_52176609b0725a5e,@object ; @__hip_cuid_52176609b0725a5e
	.section	.bss,"aw",@nobits
	.globl	__hip_cuid_52176609b0725a5e
__hip_cuid_52176609b0725a5e:
	.byte	0                               ; 0x0
	.size	__hip_cuid_52176609b0725a5e, 1

	.ident	"AMD clang version 22.0.0git (https://github.com/RadeonOpenCompute/llvm-project roc-7.2.4 26084 f58b06dce1f9c15707c5f808fd002e18c2accf7e)"
	.section	".note.GNU-stack","",@progbits
	.addrsig
	.addrsig_sym __hip_cuid_52176609b0725a5e
	.amdgpu_metadata
---
amdhsa.kernels:
  - .args:
      - .address_space:  global
        .offset:         0
        .size:           8
        .value_kind:     global_buffer
      - .actual_access:  read_only
        .address_space:  global
        .offset:         8
        .size:           8
        .value_kind:     global_buffer
      - .address_space:  global
        .offset:         16
        .size:           8
        .value_kind:     global_buffer
      - .address_space:  global
        .offset:         24
        .size:           8
        .value_kind:     global_buffer
      - .actual_access:  read_only
        .address_space:  global
        .offset:         32
        .size:           8
        .value_kind:     global_buffer
      - .offset:         40
        .size:           8
        .value_kind:     by_value
      - .offset:         48
        .size:           4
        .value_kind:     hidden_block_count_x
      - .offset:         52
        .size:           4
        .value_kind:     hidden_block_count_y
      - .offset:         56
        .size:           4
        .value_kind:     hidden_block_count_z
      - .offset:         60
        .size:           2
        .value_kind:     hidden_group_size_x
      - .offset:         62
        .size:           2
        .value_kind:     hidden_group_size_y
      - .offset:         64
        .size:           2
        .value_kind:     hidden_group_size_z
      - .offset:         66
        .size:           2
        .value_kind:     hidden_remainder_x
      - .offset:         68
        .size:           2
        .value_kind:     hidden_remainder_y
      - .offset:         70
        .size:           2
        .value_kind:     hidden_remainder_z
      - .offset:         88
        .size:           8
        .value_kind:     hidden_global_offset_x
      - .offset:         96
        .size:           8
        .value_kind:     hidden_global_offset_y
      - .offset:         104
        .size:           8
        .value_kind:     hidden_global_offset_z
      - .offset:         112
        .size:           2
        .value_kind:     hidden_grid_dims
    .group_segment_fixed_size: 0
    .kernarg_segment_align: 8
    .kernarg_segment_size: 304
    .language:       OpenCL C
    .language_version:
      - 2
      - 0
    .max_flat_workgroup_size: 1024
    .name:           _ZL18opt_step_adamw_f32PfPKfS_S_S1_l
    .private_segment_fixed_size: 0
    .sgpr_count:     20
    .sgpr_spill_count: 0
    .symbol:         _ZL18opt_step_adamw_f32PfPKfS_S_S1_l.kd
    .uniform_work_group_size: 1
    .uses_dynamic_stack: false
    .vgpr_count:     17
    .vgpr_spill_count: 0
    .wavefront_size: 64
amdhsa.target:   amdgcn-amd-amdhsa--gfx906
amdhsa.version:
  - 1
  - 2
...

	.end_amdgpu_metadata
